;; amdgpu-corpus repo=zjin-lcf/HeCBench kind=compiled arch=gfx1030 opt=O3
	.amdgcn_target "amdgcn-amd-amdhsa--gfx1030"
	.amdhsa_code_object_version 6
	.text
	.protected	_Z19bit_rev_permutationPlPKlj ; -- Begin function _Z19bit_rev_permutationPlPKlj
	.globl	_Z19bit_rev_permutationPlPKlj
	.p2align	8
	.type	_Z19bit_rev_permutationPlPKlj,@function
_Z19bit_rev_permutationPlPKlj:          ; @_Z19bit_rev_permutationPlPKlj
; %bb.0:
	s_clause 0x3
	s_load_dword s0, s[4:5], 0x18
	s_load_dword s2, s[4:5], 0x24
	;; [unrolled: 1-line block ×3, first 2 shown]
	s_load_dwordx4 s[8:11], s[4:5], 0x0
	s_waitcnt lgkmcnt(0)
	s_cmp_eq_u32 s0, 1
	s_cselect_b32 s3, -1, 0
	s_and_b32 s0, s2, 0xffff
	s_lshl_b32 s2, 1, s1
	s_cmp_eq_u32 s2, s0
	s_cselect_b32 s2, -1, 0
	s_and_b32 s2, s3, s2
	s_andn2_b32 vcc_lo, exec_lo, s2
	s_cbranch_vccz .LBB0_6
; %bb.1:
	v_mad_u64_u32 v[3:4], null, s6, s0, v[0:1]
	s_sub_i32 s0, 32, s1
	s_cmp_lg_u64 s[8:9], s[10:11]
	s_cselect_b32 s2, -1, 0
	v_bfrev_b32_e32 v1, v3
	v_lshrrev_b32_e32 v5, s0, v1
                                        ; implicit-def: $vgpr1_vgpr2
	v_cmp_eq_u32_e32 vcc_lo, v3, v5
	v_cmp_lt_u32_e64 s0, v3, v5
	s_and_b32 s4, s2, vcc_lo
	s_mov_b32 s2, 0
	s_or_b32 s3, s0, s4
	s_mov_b32 s0, 0
	s_and_saveexec_b32 s5, s3
	s_xor_b32 s3, exec_lo, s5
	s_cbranch_execz .LBB0_5
; %bb.2:
	v_mov_b32_e32 v4, 0
	s_xor_b32 s4, s4, -1
	v_lshlrev_b64 v[7:8], 3, v[3:4]
	v_add_co_u32 v1, vcc_lo, s10, v7
	v_add_co_ci_u32_e64 v2, null, s11, v8, vcc_lo
	global_load_dwordx2 v[1:2], v[1:2], off
	s_and_saveexec_b32 s0, s4
	s_cbranch_execz .LBB0_4
; %bb.3:
	v_mov_b32_e32 v6, v4
	v_lshlrev_b64 v[3:4], 3, v[5:6]
	v_add_co_u32 v3, vcc_lo, s10, v3
	v_add_co_ci_u32_e64 v4, null, s11, v4, vcc_lo
	v_add_co_u32 v7, vcc_lo, s8, v7
	v_add_co_ci_u32_e64 v8, null, s9, v8, vcc_lo
	global_load_dwordx2 v[9:10], v[3:4], off
	v_mov_b32_e32 v3, v5
	v_mov_b32_e32 v4, v6
	s_waitcnt vmcnt(0)
	global_store_dwordx2 v[7:8], v[9:10], off
.LBB0_4:
	s_or_b32 exec_lo, exec_lo, s0
	s_mov_b32 s0, exec_lo
.LBB0_5:
	s_or_b32 exec_lo, exec_lo, s3
	s_and_b32 vcc_lo, exec_lo, s2
	s_cbranch_vccnz .LBB0_7
	s_branch .LBB0_10
.LBB0_6:
	s_mov_b32 s0, 0
                                        ; implicit-def: $vgpr1_vgpr2
                                        ; implicit-def: $vgpr3_vgpr4
	s_cbranch_execz .LBB0_10
.LBB0_7:
	s_waitcnt vmcnt(0)
	v_lshlrev_b32_e32 v1, 3, v0
	s_cmp_lg_u64 s[8:9], s[10:11]
	global_load_dwordx2 v[1:2], v1, s[10:11]
	s_cbranch_scc1 .LBB0_9
; %bb.8:
	s_waitcnt vmcnt(0)
	s_waitcnt_vscnt null, 0x0
	s_barrier
	buffer_gl0_inv
.LBB0_9:
	v_bfrev_b32_e32 v0, v0
	s_sub_i32 s0, 32, s1
	v_mov_b32_e32 v4, 0
	v_lshrrev_b32_e32 v3, s0, v0
	s_mov_b32 s0, -1
.LBB0_10:
	s_and_saveexec_b32 s1, s0
	s_cbranch_execnz .LBB0_12
; %bb.11:
	s_endpgm
.LBB0_12:
	v_lshlrev_b64 v[3:4], 3, v[3:4]
	v_add_co_u32 v3, vcc_lo, s8, v3
	v_add_co_ci_u32_e64 v4, null, s9, v4, vcc_lo
	s_waitcnt vmcnt(0)
	global_store_dwordx2 v[3:4], v[1:2], off
	s_endpgm
	.section	.rodata,"a",@progbits
	.p2align	6, 0x0
	.amdhsa_kernel _Z19bit_rev_permutationPlPKlj
		.amdhsa_group_segment_fixed_size 0
		.amdhsa_private_segment_fixed_size 0
		.amdhsa_kernarg_size 280
		.amdhsa_user_sgpr_count 6
		.amdhsa_user_sgpr_private_segment_buffer 1
		.amdhsa_user_sgpr_dispatch_ptr 0
		.amdhsa_user_sgpr_queue_ptr 0
		.amdhsa_user_sgpr_kernarg_segment_ptr 1
		.amdhsa_user_sgpr_dispatch_id 0
		.amdhsa_user_sgpr_flat_scratch_init 0
		.amdhsa_user_sgpr_private_segment_size 0
		.amdhsa_wavefront_size32 1
		.amdhsa_uses_dynamic_stack 0
		.amdhsa_system_sgpr_private_segment_wavefront_offset 0
		.amdhsa_system_sgpr_workgroup_id_x 1
		.amdhsa_system_sgpr_workgroup_id_y 0
		.amdhsa_system_sgpr_workgroup_id_z 0
		.amdhsa_system_sgpr_workgroup_info 0
		.amdhsa_system_vgpr_workitem_id 0
		.amdhsa_next_free_vgpr 11
		.amdhsa_next_free_sgpr 12
		.amdhsa_reserve_vcc 1
		.amdhsa_reserve_flat_scratch 0
		.amdhsa_float_round_mode_32 0
		.amdhsa_float_round_mode_16_64 0
		.amdhsa_float_denorm_mode_32 3
		.amdhsa_float_denorm_mode_16_64 3
		.amdhsa_dx10_clamp 1
		.amdhsa_ieee_mode 1
		.amdhsa_fp16_overflow 0
		.amdhsa_workgroup_processor_mode 1
		.amdhsa_memory_ordered 1
		.amdhsa_forward_progress 1
		.amdhsa_shared_vgpr_count 0
		.amdhsa_exception_fp_ieee_invalid_op 0
		.amdhsa_exception_fp_denorm_src 0
		.amdhsa_exception_fp_ieee_div_zero 0
		.amdhsa_exception_fp_ieee_overflow 0
		.amdhsa_exception_fp_ieee_underflow 0
		.amdhsa_exception_fp_ieee_inexact 0
		.amdhsa_exception_int_div_zero 0
	.end_amdhsa_kernel
	.text
.Lfunc_end0:
	.size	_Z19bit_rev_permutationPlPKlj, .Lfunc_end0-_Z19bit_rev_permutationPlPKlj
                                        ; -- End function
	.set _Z19bit_rev_permutationPlPKlj.num_vgpr, 11
	.set _Z19bit_rev_permutationPlPKlj.num_agpr, 0
	.set _Z19bit_rev_permutationPlPKlj.numbered_sgpr, 12
	.set _Z19bit_rev_permutationPlPKlj.num_named_barrier, 0
	.set _Z19bit_rev_permutationPlPKlj.private_seg_size, 0
	.set _Z19bit_rev_permutationPlPKlj.uses_vcc, 1
	.set _Z19bit_rev_permutationPlPKlj.uses_flat_scratch, 0
	.set _Z19bit_rev_permutationPlPKlj.has_dyn_sized_stack, 0
	.set _Z19bit_rev_permutationPlPKlj.has_recursion, 0
	.set _Z19bit_rev_permutationPlPKlj.has_indirect_call, 0
	.section	.AMDGPU.csdata,"",@progbits
; Kernel info:
; codeLenInByte = 416
; TotalNumSgprs: 14
; NumVgprs: 11
; ScratchSize: 0
; MemoryBound: 0
; FloatMode: 240
; IeeeMode: 1
; LDSByteSize: 0 bytes/workgroup (compile time only)
; SGPRBlocks: 0
; VGPRBlocks: 1
; NumSGPRsForWavesPerEU: 14
; NumVGPRsForWavesPerEU: 11
; Occupancy: 16
; WaveLimiterHint : 0
; COMPUTE_PGM_RSRC2:SCRATCH_EN: 0
; COMPUTE_PGM_RSRC2:USER_SGPR: 6
; COMPUTE_PGM_RSRC2:TRAP_HANDLER: 0
; COMPUTE_PGM_RSRC2:TGID_X_EN: 1
; COMPUTE_PGM_RSRC2:TGID_Y_EN: 0
; COMPUTE_PGM_RSRC2:TGID_Z_EN: 0
; COMPUTE_PGM_RSRC2:TIDIG_COMP_CNT: 0
	.text
	.protected	_Z21bit_rev_permutation_zPlPKlj ; -- Begin function _Z21bit_rev_permutation_zPlPKlj
	.globl	_Z21bit_rev_permutation_zPlPKlj
	.p2align	8
	.type	_Z21bit_rev_permutation_zPlPKlj,@function
_Z21bit_rev_permutation_zPlPKlj:        ; @_Z21bit_rev_permutation_zPlPKlj
; %bb.0:
	s_mov_b64 s[50:51], s[2:3]
	s_mov_b64 s[48:49], s[0:1]
	s_clause 0x1
	s_load_dword s0, s[4:5], 0x10
	s_load_dword s3, s[4:5], 0x24
	v_and_b32_e32 v44, 31, v0
	s_clause 0x1
	s_load_dword s42, s[4:5], 0x18
	s_load_dwordx4 s[8:11], s[4:5], 0x0
	v_lshlrev_b32_e32 v1, 8, v0
	s_add_u32 s48, s48, s7
	v_bfrev_b32_e32 v2, v44
	s_addc_u32 s49, s49, 0
	s_mov_b32 s1, 0
	v_and_b32_e32 v1, 0x3e000, v1
	v_lshrrev_b32_e32 v3, 24, v2
	v_lshrrev_b32_e32 v2, 27, v2
	v_add3_u32 v127, 0, v1, v3
	v_mul_u32_u24_e32 v1, 0xf8, v2
	v_mov_b32_e32 v2, 0
	s_waitcnt lgkmcnt(0)
	s_add_i32 s2, s0, -5
	s_and_b32 s43, s3, 0xffff
	s_sub_i32 s3, 42, s0
	v_add_nc_u32_e32 v43, v127, v1
	s_mul_i32 s5, s42, s43
	s_add_i32 s42, s6, s42
	s_mul_i32 s4, s6, s43
	s_lshl_b32 s7, 1, s2
	s_lshl_b32 s12, 2, s2
	;; [unrolled: 1-line block ×31, first 2 shown]
	s_mul_i32 s42, s42, s43
	s_branch .LBB1_2
.LBB1_1:                                ;   in Loop: Header=BB1_2 Depth=1
	s_or_b32 exec_lo, exec_lo, s43
	v_add_nc_u32_e32 v1, s42, v0
	v_add_nc_u32_e32 v0, s5, v0
	v_lshrrev_b32_e32 v1, s2, v1
	v_cmp_ne_u32_e32 vcc_lo, 0, v1
	s_or_b32 s1, vcc_lo, s1
	s_andn2_b32 exec_lo, exec_lo, s1
	s_cbranch_execz .LBB1_69
.LBB1_2:                                ; =>This Inner Loop Header: Depth=1
	v_add_nc_u32_e32 v1, s4, v0
	s_mov_b32 s43, exec_lo
	v_lshrrev_b32_e32 v3, 5, v1
	v_bfrev_b32_e32 v4, v3
	v_lshrrev_b32_e32 v4, s3, v4
	v_cmpx_le_u32_e64 v3, v4
	s_cbranch_execz .LBB1_1
; %bb.3:                                ;   in Loop: Header=BB1_2 Depth=1
	v_and_or_b32 v1, 0xffffffe0, v1, v44
	v_lshl_or_b32 v117, v4, 5, v44
	v_lshlrev_b64 v[6:7], 3, v[1:2]
	v_add_co_u32 v5, vcc_lo, s10, v6
	buffer_store_dword v6, off, s[48:51], 0 offset:168 ; 4-byte Folded Spill
	buffer_store_dword v7, off, s[48:51], 0 offset:172 ; 4-byte Folded Spill
	v_add_co_ci_u32_e64 v6, null, s11, v7, vcc_lo
	v_cmp_ne_u32_e32 vcc_lo, v3, v4
	global_load_dwordx2 v[5:6], v[5:6], off
	s_waitcnt vmcnt(0)
	buffer_store_dword v5, off, s[48:51], 0 ; 4-byte Folded Spill
	buffer_store_dword v6, off, s[48:51], 0 offset:4 ; 4-byte Folded Spill
	ds_write_b64 v127, v[5:6]
	s_and_saveexec_b32 s44, vcc_lo
	s_cbranch_execz .LBB1_5
; %bb.4:                                ;   in Loop: Header=BB1_2 Depth=1
	v_mov_b32_e32 v118, v2
	v_lshlrev_b64 v[3:4], 3, v[117:118]
	v_add_co_u32 v3, s0, s10, v3
	v_add_co_ci_u32_e64 v4, null, s11, v4, s0
	global_load_dwordx2 v[3:4], v[3:4], off
	s_waitcnt vmcnt(0)
	buffer_store_dword v3, off, s[48:51], 0 ; 4-byte Folded Spill
	buffer_store_dword v4, off, s[48:51], 0 offset:4 ; 4-byte Folded Spill
.LBB1_5:                                ;   in Loop: Header=BB1_2 Depth=1
	s_or_b32 exec_lo, exec_lo, s44
	v_add_nc_u32_e32 v3, s7, v1
	v_mov_b32_e32 v4, v2
	v_add_nc_u32_e32 v121, s7, v117
	v_lshlrev_b64 v[4:5], 3, v[3:4]
	v_add_co_u32 v3, s0, s10, v4
	buffer_store_dword v4, off, s[48:51], 0 offset:176 ; 4-byte Folded Spill
	buffer_store_dword v5, off, s[48:51], 0 offset:180 ; 4-byte Folded Spill
	v_add_co_ci_u32_e64 v4, null, s11, v5, s0
	global_load_dwordx2 v[3:4], v[3:4], off
	s_waitcnt vmcnt(0)
	buffer_store_dword v3, off, s[48:51], 0 offset:8 ; 4-byte Folded Spill
	buffer_store_dword v4, off, s[48:51], 0 offset:12 ; 4-byte Folded Spill
	ds_write_b64 v127, v[3:4] offset:256
	s_and_saveexec_b32 s44, vcc_lo
	s_cbranch_execz .LBB1_7
; %bb.6:                                ;   in Loop: Header=BB1_2 Depth=1
	v_mov_b32_e32 v122, v2
	v_lshlrev_b64 v[3:4], 3, v[121:122]
	v_add_co_u32 v3, s0, s10, v3
	v_add_co_ci_u32_e64 v4, null, s11, v4, s0
	global_load_dwordx2 v[3:4], v[3:4], off
	s_waitcnt vmcnt(0)
	buffer_store_dword v3, off, s[48:51], 0 offset:8 ; 4-byte Folded Spill
	buffer_store_dword v4, off, s[48:51], 0 offset:12 ; 4-byte Folded Spill
.LBB1_7:                                ;   in Loop: Header=BB1_2 Depth=1
	s_or_b32 exec_lo, exec_lo, s44
	v_add_nc_u32_e32 v3, s12, v1
	v_mov_b32_e32 v4, v2
	v_add_nc_u32_e32 v125, s12, v117
	v_lshlrev_b64 v[4:5], 3, v[3:4]
	v_add_co_u32 v3, s0, s10, v4
	buffer_store_dword v4, off, s[48:51], 0 offset:184 ; 4-byte Folded Spill
	buffer_store_dword v5, off, s[48:51], 0 offset:188 ; 4-byte Folded Spill
	v_add_co_ci_u32_e64 v4, null, s11, v5, s0
	global_load_dwordx2 v[3:4], v[3:4], off
	s_waitcnt vmcnt(0)
	buffer_store_dword v3, off, s[48:51], 0 offset:16 ; 4-byte Folded Spill
	buffer_store_dword v4, off, s[48:51], 0 offset:20 ; 4-byte Folded Spill
	ds_write_b64 v127, v[3:4] offset:512
	s_and_saveexec_b32 s44, vcc_lo
	s_cbranch_execz .LBB1_9
; %bb.8:                                ;   in Loop: Header=BB1_2 Depth=1
	v_mov_b32_e32 v126, v2
	v_lshlrev_b64 v[3:4], 3, v[125:126]
	v_add_co_u32 v3, s0, s10, v3
	v_add_co_ci_u32_e64 v4, null, s11, v4, s0
	global_load_dwordx2 v[3:4], v[3:4], off
	s_waitcnt vmcnt(0)
	buffer_store_dword v3, off, s[48:51], 0 offset:16 ; 4-byte Folded Spill
	buffer_store_dword v4, off, s[48:51], 0 offset:20 ; 4-byte Folded Spill
.LBB1_9:                                ;   in Loop: Header=BB1_2 Depth=1
	s_or_b32 exec_lo, exec_lo, s44
	v_add_nc_u32_e32 v3, s13, v1
	v_mov_b32_e32 v4, v2
	v_add_nc_u32_e32 v35, s13, v117
	v_lshlrev_b64 v[4:5], 3, v[3:4]
	v_add_co_u32 v3, s0, s10, v4
	buffer_store_dword v4, off, s[48:51], 0 offset:192 ; 4-byte Folded Spill
	buffer_store_dword v5, off, s[48:51], 0 offset:196 ; 4-byte Folded Spill
	v_add_co_ci_u32_e64 v4, null, s11, v5, s0
	global_load_dwordx2 v[3:4], v[3:4], off
	s_waitcnt vmcnt(0)
	buffer_store_dword v3, off, s[48:51], 0 offset:24 ; 4-byte Folded Spill
	buffer_store_dword v4, off, s[48:51], 0 offset:28 ; 4-byte Folded Spill
	ds_write_b64 v127, v[3:4] offset:768
	s_and_saveexec_b32 s44, vcc_lo
	s_cbranch_execz .LBB1_11
; %bb.10:                               ;   in Loop: Header=BB1_2 Depth=1
	v_mov_b32_e32 v36, v2
	v_lshlrev_b64 v[3:4], 3, v[35:36]
	v_add_co_u32 v3, s0, s10, v3
	v_add_co_ci_u32_e64 v4, null, s11, v4, s0
	global_load_dwordx2 v[3:4], v[3:4], off
	s_waitcnt vmcnt(0)
	buffer_store_dword v3, off, s[48:51], 0 offset:24 ; 4-byte Folded Spill
	buffer_store_dword v4, off, s[48:51], 0 offset:28 ; 4-byte Folded Spill
.LBB1_11:                               ;   in Loop: Header=BB1_2 Depth=1
	s_or_b32 exec_lo, exec_lo, s44
	v_add_nc_u32_e32 v3, s14, v1
	v_mov_b32_e32 v4, v2
	v_add_nc_u32_e32 v123, s14, v117
	v_lshlrev_b64 v[4:5], 3, v[3:4]
	v_add_co_u32 v3, s0, s10, v4
	buffer_store_dword v4, off, s[48:51], 0 offset:200 ; 4-byte Folded Spill
	buffer_store_dword v5, off, s[48:51], 0 offset:204 ; 4-byte Folded Spill
	v_add_co_ci_u32_e64 v4, null, s11, v5, s0
	global_load_dwordx2 v[3:4], v[3:4], off
	s_waitcnt vmcnt(0)
	buffer_store_dword v3, off, s[48:51], 0 offset:32 ; 4-byte Folded Spill
	buffer_store_dword v4, off, s[48:51], 0 offset:36 ; 4-byte Folded Spill
	ds_write_b64 v127, v[3:4] offset:1024
	s_and_saveexec_b32 s44, vcc_lo
	s_cbranch_execz .LBB1_13
; %bb.12:                               ;   in Loop: Header=BB1_2 Depth=1
	v_mov_b32_e32 v124, v2
	v_lshlrev_b64 v[3:4], 3, v[123:124]
	v_add_co_u32 v3, s0, s10, v3
	v_add_co_ci_u32_e64 v4, null, s11, v4, s0
	global_load_dwordx2 v[3:4], v[3:4], off
	s_waitcnt vmcnt(0)
	buffer_store_dword v3, off, s[48:51], 0 offset:32 ; 4-byte Folded Spill
	buffer_store_dword v4, off, s[48:51], 0 offset:36 ; 4-byte Folded Spill
.LBB1_13:                               ;   in Loop: Header=BB1_2 Depth=1
	;; [unrolled: 26-line block ×11, first 2 shown]
	s_or_b32 exec_lo, exec_lo, s44
	v_add_nc_u32_e32 v3, s24, v1
	v_mov_b32_e32 v4, v2
	v_lshlrev_b64 v[4:5], 3, v[3:4]
	v_add_co_u32 v3, s0, s10, v4
	buffer_store_dword v4, off, s[48:51], 0 offset:272 ; 4-byte Folded Spill
	buffer_store_dword v5, off, s[48:51], 0 offset:276 ; 4-byte Folded Spill
	v_add_co_ci_u32_e64 v4, null, s11, v5, s0
	v_add_nc_u32_e32 v5, s24, v117
	global_load_dwordx2 v[3:4], v[3:4], off
	s_waitcnt vmcnt(0)
	buffer_store_dword v3, off, s[48:51], 0 offset:112 ; 4-byte Folded Spill
	buffer_store_dword v4, off, s[48:51], 0 offset:116 ; 4-byte Folded Spill
	ds_write_b64 v127, v[3:4] offset:3584
	s_and_saveexec_b32 s44, vcc_lo
	s_cbranch_execz .LBB1_33
; %bb.32:                               ;   in Loop: Header=BB1_2 Depth=1
	v_mov_b32_e32 v6, v2
	v_lshlrev_b64 v[3:4], 3, v[5:6]
	v_add_co_u32 v3, s0, s10, v3
	v_add_co_ci_u32_e64 v4, null, s11, v4, s0
	global_load_dwordx2 v[3:4], v[3:4], off
	s_waitcnt vmcnt(0)
	buffer_store_dword v3, off, s[48:51], 0 offset:112 ; 4-byte Folded Spill
	buffer_store_dword v4, off, s[48:51], 0 offset:116 ; 4-byte Folded Spill
.LBB1_33:                               ;   in Loop: Header=BB1_2 Depth=1
	s_or_b32 exec_lo, exec_lo, s44
	v_add_nc_u32_e32 v3, s25, v1
	v_mov_b32_e32 v4, v2
	v_add_nc_u32_e32 v15, s25, v117
	v_lshlrev_b64 v[8:9], 3, v[3:4]
	v_add_co_u32 v3, s0, s10, v8
	buffer_store_dword v8, off, s[48:51], 0 offset:288 ; 4-byte Folded Spill
	buffer_store_dword v9, off, s[48:51], 0 offset:292 ; 4-byte Folded Spill
	v_add_co_ci_u32_e64 v4, null, s11, v9, s0
	global_load_dwordx2 v[3:4], v[3:4], off
	s_waitcnt vmcnt(0)
	buffer_store_dword v3, off, s[48:51], 0 offset:120 ; 4-byte Folded Spill
	buffer_store_dword v4, off, s[48:51], 0 offset:124 ; 4-byte Folded Spill
	ds_write_b64 v127, v[3:4] offset:3840
	s_and_saveexec_b32 s44, vcc_lo
	s_cbranch_execz .LBB1_35
; %bb.34:                               ;   in Loop: Header=BB1_2 Depth=1
	v_mov_b32_e32 v16, v2
	v_lshlrev_b64 v[3:4], 3, v[15:16]
	v_add_co_u32 v3, s0, s10, v3
	v_add_co_ci_u32_e64 v4, null, s11, v4, s0
	global_load_dwordx2 v[3:4], v[3:4], off
	s_waitcnt vmcnt(0)
	buffer_store_dword v3, off, s[48:51], 0 offset:120 ; 4-byte Folded Spill
	buffer_store_dword v4, off, s[48:51], 0 offset:124 ; 4-byte Folded Spill
.LBB1_35:                               ;   in Loop: Header=BB1_2 Depth=1
	s_or_b32 exec_lo, exec_lo, s44
	v_add_nc_u32_e32 v3, s26, v1
	v_mov_b32_e32 v4, v2
	v_add_nc_u32_e32 v65, s26, v117
	v_lshlrev_b64 v[107:108], 3, v[3:4]
	v_add_co_u32 v3, s0, s10, v107
	v_add_co_ci_u32_e64 v4, null, s11, v108, s0
	global_load_dwordx2 v[3:4], v[3:4], off
	s_waitcnt vmcnt(0)
	buffer_store_dword v3, off, s[48:51], 0 offset:128 ; 4-byte Folded Spill
	buffer_store_dword v4, off, s[48:51], 0 offset:132 ; 4-byte Folded Spill
	ds_write_b64 v127, v[3:4] offset:4096
	s_and_saveexec_b32 s44, vcc_lo
	s_cbranch_execz .LBB1_37
; %bb.36:                               ;   in Loop: Header=BB1_2 Depth=1
	v_mov_b32_e32 v66, v2
	v_lshlrev_b64 v[3:4], 3, v[65:66]
	v_add_co_u32 v3, s0, s10, v3
	v_add_co_ci_u32_e64 v4, null, s11, v4, s0
	global_load_dwordx2 v[3:4], v[3:4], off
	s_waitcnt vmcnt(0)
	buffer_store_dword v3, off, s[48:51], 0 offset:128 ; 4-byte Folded Spill
	buffer_store_dword v4, off, s[48:51], 0 offset:132 ; 4-byte Folded Spill
.LBB1_37:                               ;   in Loop: Header=BB1_2 Depth=1
	s_or_b32 exec_lo, exec_lo, s44
	v_add_nc_u32_e32 v3, s27, v1
	v_mov_b32_e32 v4, v2
	v_add_nc_u32_e32 v85, s27, v117
	v_lshlrev_b64 v[57:58], 3, v[3:4]
	v_add_co_u32 v3, s0, s10, v57
	v_add_co_ci_u32_e64 v4, null, s11, v58, s0
	global_load_dwordx2 v[3:4], v[3:4], off
	s_waitcnt vmcnt(0)
	buffer_store_dword v3, off, s[48:51], 0 offset:136 ; 4-byte Folded Spill
	buffer_store_dword v4, off, s[48:51], 0 offset:140 ; 4-byte Folded Spill
	ds_write_b64 v127, v[3:4] offset:4352
	s_and_saveexec_b32 s44, vcc_lo
	s_cbranch_execz .LBB1_39
; %bb.38:                               ;   in Loop: Header=BB1_2 Depth=1
	v_mov_b32_e32 v86, v2
	v_lshlrev_b64 v[3:4], 3, v[85:86]
	v_add_co_u32 v3, s0, s10, v3
	v_add_co_ci_u32_e64 v4, null, s11, v4, s0
	global_load_dwordx2 v[3:4], v[3:4], off
	s_waitcnt vmcnt(0)
	buffer_store_dword v3, off, s[48:51], 0 offset:136 ; 4-byte Folded Spill
	buffer_store_dword v4, off, s[48:51], 0 offset:140 ; 4-byte Folded Spill
.LBB1_39:                               ;   in Loop: Header=BB1_2 Depth=1
	s_or_b32 exec_lo, exec_lo, s44
	v_add_nc_u32_e32 v3, s28, v1
	v_mov_b32_e32 v4, v2
	v_lshlrev_b64 v[53:54], 3, v[3:4]
	v_add_co_u32 v3, s0, s10, v53
	v_add_co_ci_u32_e64 v4, null, s11, v54, s0
	global_load_dwordx2 v[8:9], v[3:4], off
	v_add_nc_u32_e32 v3, s28, v117
	s_waitcnt vmcnt(0)
	buffer_store_dword v8, off, s[48:51], 0 offset:144 ; 4-byte Folded Spill
	buffer_store_dword v9, off, s[48:51], 0 offset:148 ; 4-byte Folded Spill
	ds_write_b64 v127, v[8:9] offset:4608
	s_and_saveexec_b32 s44, vcc_lo
	s_cbranch_execz .LBB1_41
; %bb.40:                               ;   in Loop: Header=BB1_2 Depth=1
	v_mov_b32_e32 v4, v2
	v_lshlrev_b64 v[8:9], 3, v[3:4]
	v_add_co_u32 v8, s0, s10, v8
	v_add_co_ci_u32_e64 v9, null, s11, v9, s0
	global_load_dwordx2 v[8:9], v[8:9], off
	s_waitcnt vmcnt(0)
	buffer_store_dword v8, off, s[48:51], 0 offset:144 ; 4-byte Folded Spill
	buffer_store_dword v9, off, s[48:51], 0 offset:148 ; 4-byte Folded Spill
.LBB1_41:                               ;   in Loop: Header=BB1_2 Depth=1
	s_or_b32 exec_lo, exec_lo, s44
	v_add_nc_u32_e32 v8, s29, v1
	v_mov_b32_e32 v9, v2
	v_lshlrev_b64 v[59:60], 3, v[8:9]
	v_add_co_u32 v8, s0, s10, v59
	v_add_co_ci_u32_e64 v9, null, s11, v60, s0
	global_load_dwordx2 v[12:13], v[8:9], off
	v_add_nc_u32_e32 v9, s29, v117
	s_waitcnt vmcnt(0)
	buffer_store_dword v12, off, s[48:51], 0 offset:152 ; 4-byte Folded Spill
	buffer_store_dword v13, off, s[48:51], 0 offset:156 ; 4-byte Folded Spill
	ds_write_b64 v127, v[12:13] offset:4864
	s_and_saveexec_b32 s44, vcc_lo
	s_cbranch_execz .LBB1_43
; %bb.42:                               ;   in Loop: Header=BB1_2 Depth=1
	v_mov_b32_e32 v10, v2
	v_lshlrev_b64 v[12:13], 3, v[9:10]
	v_add_co_u32 v12, s0, s10, v12
	v_add_co_ci_u32_e64 v13, null, s11, v13, s0
	global_load_dwordx2 v[12:13], v[12:13], off
	s_waitcnt vmcnt(0)
	buffer_store_dword v12, off, s[48:51], 0 offset:152 ; 4-byte Folded Spill
	buffer_store_dword v13, off, s[48:51], 0 offset:156 ; 4-byte Folded Spill
.LBB1_43:                               ;   in Loop: Header=BB1_2 Depth=1
	s_or_b32 exec_lo, exec_lo, s44
	v_add_nc_u32_e32 v12, s30, v1
	v_mov_b32_e32 v13, v2
	v_add_nc_u32_e32 v81, s30, v117
	v_lshlrev_b64 v[63:64], 3, v[12:13]
	v_add_co_u32 v12, s0, s10, v63
	v_add_co_ci_u32_e64 v13, null, s11, v64, s0
	global_load_dwordx2 v[12:13], v[12:13], off
	s_waitcnt vmcnt(0)
	buffer_store_dword v12, off, s[48:51], 0 offset:160 ; 4-byte Folded Spill
	buffer_store_dword v13, off, s[48:51], 0 offset:164 ; 4-byte Folded Spill
	ds_write_b64 v127, v[12:13] offset:5120
	s_and_saveexec_b32 s44, vcc_lo
	s_cbranch_execz .LBB1_45
; %bb.44:                               ;   in Loop: Header=BB1_2 Depth=1
	v_mov_b32_e32 v82, v2
	v_lshlrev_b64 v[12:13], 3, v[81:82]
	v_add_co_u32 v12, s0, s10, v12
	v_add_co_ci_u32_e64 v13, null, s11, v13, s0
	global_load_dwordx2 v[12:13], v[12:13], off
	s_waitcnt vmcnt(0)
	buffer_store_dword v12, off, s[48:51], 0 offset:160 ; 4-byte Folded Spill
	buffer_store_dword v13, off, s[48:51], 0 offset:164 ; 4-byte Folded Spill
.LBB1_45:                               ;   in Loop: Header=BB1_2 Depth=1
	s_or_b32 exec_lo, exec_lo, s44
	v_add_nc_u32_e32 v12, s31, v1
	v_mov_b32_e32 v13, v2
	v_lshlrev_b64 v[67:68], 3, v[12:13]
	v_add_co_u32 v12, s0, s10, v67
	v_add_co_ci_u32_e64 v13, null, s11, v68, s0
	global_load_dwordx2 v[109:110], v[12:13], off
	v_add_nc_u32_e32 v13, s31, v117
	s_waitcnt vmcnt(0)
	ds_write_b64 v127, v[109:110] offset:5376
	s_and_saveexec_b32 s44, vcc_lo
	s_cbranch_execz .LBB1_47
; %bb.46:                               ;   in Loop: Header=BB1_2 Depth=1
	v_mov_b32_e32 v14, v2
	v_lshlrev_b64 v[16:17], 3, v[13:14]
	v_add_co_u32 v16, s0, s10, v16
	v_add_co_ci_u32_e64 v17, null, s11, v17, s0
	global_load_dwordx2 v[109:110], v[16:17], off
.LBB1_47:                               ;   in Loop: Header=BB1_2 Depth=1
	s_or_b32 exec_lo, exec_lo, s44
	v_add_nc_u32_e32 v16, s33, v1
	v_mov_b32_e32 v17, v2
	v_add_nc_u32_e32 v93, s33, v117
	v_lshlrev_b64 v[69:70], 3, v[16:17]
	v_add_co_u32 v16, s0, s10, v69
	v_add_co_ci_u32_e64 v17, null, s11, v70, s0
	global_load_dwordx2 v[111:112], v[16:17], off
	s_waitcnt vmcnt(0)
	ds_write_b64 v127, v[111:112] offset:5632
	s_and_saveexec_b32 s44, vcc_lo
	s_cbranch_execz .LBB1_49
; %bb.48:                               ;   in Loop: Header=BB1_2 Depth=1
	v_mov_b32_e32 v94, v2
	v_lshlrev_b64 v[16:17], 3, v[93:94]
	v_add_co_u32 v16, s0, s10, v16
	v_add_co_ci_u32_e64 v17, null, s11, v17, s0
	global_load_dwordx2 v[111:112], v[16:17], off
.LBB1_49:                               ;   in Loop: Header=BB1_2 Depth=1
	s_or_b32 exec_lo, exec_lo, s44
	v_add_nc_u32_e32 v16, s34, v1
	v_mov_b32_e32 v17, v2
	v_add_nc_u32_e32 v25, s34, v117
	v_lshlrev_b64 v[73:74], 3, v[16:17]
	v_add_co_u32 v16, s0, s10, v73
	v_add_co_ci_u32_e64 v17, null, s11, v74, s0
	global_load_dwordx2 v[113:114], v[16:17], off
	s_waitcnt vmcnt(0)
	ds_write_b64 v127, v[113:114] offset:5888
	s_and_saveexec_b32 s44, vcc_lo
	s_cbranch_execz .LBB1_51
; %bb.50:                               ;   in Loop: Header=BB1_2 Depth=1
	v_mov_b32_e32 v26, v2
	v_lshlrev_b64 v[16:17], 3, v[25:26]
	v_add_co_u32 v16, s0, s10, v16
	v_add_co_ci_u32_e64 v17, null, s11, v17, s0
	global_load_dwordx2 v[113:114], v[16:17], off
.LBB1_51:                               ;   in Loop: Header=BB1_2 Depth=1
	s_or_b32 exec_lo, exec_lo, s44
	v_add_nc_u32_e32 v16, s35, v1
	v_mov_b32_e32 v17, v2
	v_add_nc_u32_e32 v19, s35, v117
	v_lshlrev_b64 v[77:78], 3, v[16:17]
	v_add_co_u32 v16, s0, s10, v77
	v_add_co_ci_u32_e64 v17, null, s11, v78, s0
	global_load_dwordx2 v[115:116], v[16:17], off
	s_waitcnt vmcnt(0)
	ds_write_b64 v127, v[115:116] offset:6144
	s_and_saveexec_b32 s44, vcc_lo
	s_cbranch_execz .LBB1_53
; %bb.52:                               ;   in Loop: Header=BB1_2 Depth=1
	v_mov_b32_e32 v20, v2
	v_lshlrev_b64 v[16:17], 3, v[19:20]
	v_add_co_u32 v16, s0, s10, v16
	v_add_co_ci_u32_e64 v17, null, s11, v17, s0
	global_load_dwordx2 v[115:116], v[16:17], off
.LBB1_53:                               ;   in Loop: Header=BB1_2 Depth=1
	s_or_b32 exec_lo, exec_lo, s44
	v_add_nc_u32_e32 v16, s36, v1
	v_mov_b32_e32 v17, v2
	v_add_nc_u32_e32 v99, s36, v117
	v_lshlrev_b64 v[79:80], 3, v[16:17]
	v_add_co_u32 v16, s0, s10, v79
	v_add_co_ci_u32_e64 v17, null, s11, v80, s0
	global_load_dwordx2 v[119:120], v[16:17], off
	s_waitcnt vmcnt(0)
	ds_write_b64 v127, v[119:120] offset:6400
	s_and_saveexec_b32 s44, vcc_lo
	s_cbranch_execz .LBB1_55
; %bb.54:                               ;   in Loop: Header=BB1_2 Depth=1
	v_mov_b32_e32 v100, v2
	v_lshlrev_b64 v[16:17], 3, v[99:100]
	v_add_co_u32 v16, s0, s10, v16
	v_add_co_ci_u32_e64 v17, null, s11, v17, s0
	global_load_dwordx2 v[119:120], v[16:17], off
.LBB1_55:                               ;   in Loop: Header=BB1_2 Depth=1
	s_or_b32 exec_lo, exec_lo, s44
	v_add_nc_u32_e32 v16, s37, v1
	v_mov_b32_e32 v17, v2
	v_add_nc_u32_e32 v31, s37, v117
	v_lshlrev_b64 v[83:84], 3, v[16:17]
	v_add_co_u32 v16, s0, s10, v83
	v_add_co_ci_u32_e64 v17, null, s11, v84, s0
	global_load_dwordx2 v[17:18], v[16:17], off
	s_waitcnt vmcnt(0)
	ds_write_b64 v127, v[17:18] offset:6656
	s_and_saveexec_b32 s44, vcc_lo
	s_cbranch_execz .LBB1_57
; %bb.56:                               ;   in Loop: Header=BB1_2 Depth=1
	v_mov_b32_e32 v32, v2
	v_lshlrev_b64 v[16:17], 3, v[31:32]
	v_add_co_u32 v16, s0, s10, v16
	v_add_co_ci_u32_e64 v17, null, s11, v17, s0
	global_load_dwordx2 v[17:18], v[16:17], off
.LBB1_57:                               ;   in Loop: Header=BB1_2 Depth=1
	s_or_b32 exec_lo, exec_lo, s44
	v_add_nc_u32_e32 v20, s38, v1
	v_mov_b32_e32 v21, v2
	v_add_nc_u32_e32 v103, s38, v117
	v_lshlrev_b64 v[87:88], 3, v[20:21]
	v_add_co_u32 v20, s0, s10, v87
	v_add_co_ci_u32_e64 v21, null, s11, v88, s0
	global_load_dwordx2 v[45:46], v[20:21], off
	s_waitcnt vmcnt(0)
	ds_write_b64 v127, v[45:46] offset:6912
	s_and_saveexec_b32 s44, vcc_lo
	s_cbranch_execz .LBB1_59
; %bb.58:                               ;   in Loop: Header=BB1_2 Depth=1
	v_mov_b32_e32 v104, v2
	v_lshlrev_b64 v[20:21], 3, v[103:104]
	v_add_co_u32 v20, s0, s10, v20
	v_add_co_ci_u32_e64 v21, null, s11, v21, s0
	global_load_dwordx2 v[45:46], v[20:21], off
.LBB1_59:                               ;   in Loop: Header=BB1_2 Depth=1
	s_or_b32 exec_lo, exec_lo, s44
	v_add_nc_u32_e32 v20, s39, v1
	v_mov_b32_e32 v21, v2
	v_add_nc_u32_e32 v33, s39, v117
	v_lshlrev_b64 v[89:90], 3, v[20:21]
	v_add_co_u32 v20, s0, s10, v89
	v_add_co_ci_u32_e64 v21, null, s11, v90, s0
	global_load_dwordx2 v[75:76], v[20:21], off
	s_waitcnt vmcnt(0)
	ds_write_b64 v127, v[75:76] offset:7168
	s_and_saveexec_b32 s44, vcc_lo
	s_cbranch_execz .LBB1_61
; %bb.60:                               ;   in Loop: Header=BB1_2 Depth=1
	v_mov_b32_e32 v34, v2
	v_lshlrev_b64 v[20:21], 3, v[33:34]
	v_add_co_u32 v20, s0, s10, v20
	v_add_co_ci_u32_e64 v21, null, s11, v21, s0
	global_load_dwordx2 v[75:76], v[20:21], off
.LBB1_61:                               ;   in Loop: Header=BB1_2 Depth=1
	s_or_b32 exec_lo, exec_lo, s44
	v_add_nc_u32_e32 v20, s40, v1
	v_mov_b32_e32 v21, v2
	v_add_nc_u32_e32 v37, s40, v117
	v_lshlrev_b64 v[95:96], 3, v[20:21]
	v_add_co_u32 v20, s0, s10, v95
	v_add_co_ci_u32_e64 v21, null, s11, v96, s0
	global_load_dwordx2 v[91:92], v[20:21], off
	s_waitcnt vmcnt(0)
	ds_write_b64 v127, v[91:92] offset:7424
	s_and_saveexec_b32 s44, vcc_lo
	s_cbranch_execz .LBB1_63
; %bb.62:                               ;   in Loop: Header=BB1_2 Depth=1
	v_mov_b32_e32 v38, v2
	v_lshlrev_b64 v[20:21], 3, v[37:38]
	v_add_co_u32 v20, s0, s10, v20
	v_add_co_ci_u32_e64 v21, null, s11, v21, s0
	global_load_dwordx2 v[91:92], v[20:21], off
.LBB1_63:                               ;   in Loop: Header=BB1_2 Depth=1
	s_or_b32 exec_lo, exec_lo, s44
	v_add_nc_u32_e32 v20, s41, v1
	v_mov_b32_e32 v21, v2
	v_add_nc_u32_e32 v41, s41, v117
	v_lshlrev_b64 v[97:98], 3, v[20:21]
	v_add_co_u32 v20, s0, s10, v97
	v_add_co_ci_u32_e64 v21, null, s11, v98, s0
	global_load_dwordx2 v[21:22], v[20:21], off
	s_waitcnt vmcnt(0)
	ds_write_b64 v127, v[21:22] offset:7680
	s_and_saveexec_b32 s44, vcc_lo
	s_cbranch_execz .LBB1_65
; %bb.64:                               ;   in Loop: Header=BB1_2 Depth=1
	v_mov_b32_e32 v42, v2
	v_lshlrev_b64 v[20:21], 3, v[41:42]
	v_add_co_u32 v20, s0, s10, v20
	v_add_co_ci_u32_e64 v21, null, s11, v21, s0
	global_load_dwordx2 v[21:22], v[20:21], off
.LBB1_65:                               ;   in Loop: Header=BB1_2 Depth=1
	s_or_b32 exec_lo, exec_lo, s44
	v_add_nc_u32_e32 v1, s6, v1
	v_lshlrev_b64 v[101:102], 3, v[1:2]
	v_add_nc_u32_e32 v1, s6, v117
	v_lshlrev_b64 v[105:106], 3, v[1:2]
	v_add_co_u32 v26, s0, s10, v101
	v_add_co_ci_u32_e64 v27, null, s11, v102, s0
	global_load_dwordx2 v[27:28], v[26:27], off
	s_waitcnt vmcnt(0)
	ds_write_b64 v127, v[27:28] offset:7936
	s_and_saveexec_b32 s44, vcc_lo
	s_cbranch_execz .LBB1_67
; %bb.66:                               ;   in Loop: Header=BB1_2 Depth=1
	v_add_co_u32 v26, s0, s10, v105
	v_add_co_ci_u32_e64 v27, null, s11, v106, s0
	global_load_dwordx2 v[27:28], v[26:27], off
.LBB1_67:                               ;   in Loop: Header=BB1_2 Depth=1
	s_or_b32 exec_lo, exec_lo, s44
	v_mov_b32_e32 v118, v2
	v_mov_b32_e32 v122, v2
	;; [unrolled: 1-line block ×5, first 2 shown]
	v_lshlrev_b64 v[47:48], 3, v[117:118]
	v_mov_b32_e32 v12, v2
	v_mov_b32_e32 v30, v2
	v_lshlrev_b64 v[34:35], 3, v[35:36]
	v_mov_b32_e32 v56, v2
	v_mov_b32_e32 v24, v2
	v_add_co_u32 v117, s0, s8, v47
	v_add_co_ci_u32_e64 v118, null, s9, v48, s0
	v_lshlrev_b64 v[47:48], 3, v[121:122]
	v_lshlrev_b64 v[10:11], 3, v[11:12]
	v_mov_b32_e32 v40, v2
	v_mov_b32_e32 v62, v2
	;; [unrolled: 1-line block ×4, first 2 shown]
	v_add_co_u32 v121, s0, s8, v47
	v_add_co_ci_u32_e64 v122, null, s9, v48, s0
	ds_read2_b64 v[47:50], v43 offset1:1
	v_lshlrev_b64 v[6:7], 3, v[7:8]
	v_mov_b32_e32 v72, v2
	v_mov_b32_e32 v16, v2
	;; [unrolled: 1-line block ×13, first 2 shown]
	s_waitcnt lgkmcnt(0)
	global_store_dwordx2 v[117:118], v[47:48], off
	global_store_dwordx2 v[121:122], v[49:50], off
	v_lshlrev_b64 v[47:48], 3, v[125:126]
	v_add_co_u32 v117, s0, s8, v47
	v_add_co_ci_u32_e64 v118, null, s9, v48, s0
	ds_read2_b64 v[47:50], v43 offset0:2 offset1:3
	v_add_co_u32 v34, s0, s8, v34
	v_add_co_ci_u32_e64 v35, null, s9, v35, s0
	s_waitcnt lgkmcnt(0)
	global_store_dwordx2 v[117:118], v[47:48], off
	global_store_dwordx2 v[34:35], v[49:50], off
	ds_read2_b64 v[47:50], v43 offset0:4 offset1:5
	v_lshlrev_b64 v[34:35], 3, v[123:124]
	v_add_co_u32 v34, s0, s8, v34
	v_add_co_ci_u32_e64 v35, null, s9, v35, s0
	v_add_co_u32 v10, s0, s8, v10
	v_add_co_ci_u32_e64 v11, null, s9, v11, s0
	s_waitcnt lgkmcnt(0)
	global_store_dwordx2 v[34:35], v[47:48], off
	global_store_dwordx2 v[10:11], v[49:50], off
	ds_read2_b64 v[47:50], v43 offset0:6 offset1:7
	v_lshlrev_b64 v[10:11], 3, v[29:30]
	v_lshlrev_b64 v[29:30], 3, v[55:56]
	v_mov_b32_e32 v34, v2
	v_add_co_u32 v10, s0, s8, v10
	v_add_co_ci_u32_e64 v11, null, s9, v11, s0
	v_add_co_u32 v29, s0, s8, v29
	v_add_co_ci_u32_e64 v30, null, s9, v30, s0
	s_waitcnt lgkmcnt(0)
	global_store_dwordx2 v[10:11], v[47:48], off
	global_store_dwordx2 v[29:30], v[49:50], off
	ds_read2_b64 v[47:50], v43 offset0:8 offset1:9
	v_lshlrev_b64 v[10:11], 3, v[23:24]
	v_lshlrev_b64 v[23:24], 3, v[39:40]
	v_add_co_u32 v10, s0, s8, v10
	v_add_co_ci_u32_e64 v11, null, s9, v11, s0
	v_add_co_u32 v23, s0, s8, v23
	v_add_co_ci_u32_e64 v24, null, s9, v24, s0
	s_waitcnt lgkmcnt(0)
	global_store_dwordx2 v[10:11], v[47:48], off
	global_store_dwordx2 v[23:24], v[49:50], off
	ds_read2_b64 v[47:50], v43 offset0:10 offset1:11
	v_lshlrev_b64 v[10:11], 3, v[61:62]
	v_lshlrev_b64 v[23:24], 3, v[25:26]
	v_add_co_u32 v10, s0, s8, v10
	v_add_co_ci_u32_e64 v11, null, s9, v11, s0
	v_add_co_u32 v6, s0, s8, v6
	v_add_co_ci_u32_e64 v7, null, s9, v7, s0
	s_waitcnt lgkmcnt(0)
	global_store_dwordx2 v[10:11], v[47:48], off
	global_store_dwordx2 v[6:7], v[49:50], off
	ds_read2_b64 v[47:50], v43 offset0:12 offset1:13
	v_lshlrev_b64 v[6:7], 3, v[51:52]
	v_lshlrev_b64 v[10:11], 3, v[71:72]
	v_add_co_u32 v6, s0, s8, v6
	v_add_co_ci_u32_e64 v7, null, s9, v7, s0
	v_add_co_u32 v10, s0, s8, v10
	v_add_co_ci_u32_e64 v11, null, s9, v11, s0
	s_waitcnt lgkmcnt(0)
	global_store_dwordx2 v[6:7], v[47:48], off
	global_store_dwordx2 v[10:11], v[49:50], off
	v_mov_b32_e32 v6, v2
	v_lshlrev_b64 v[4:5], 3, v[5:6]
	v_add_co_u32 v10, s0, s8, v4
	v_add_co_ci_u32_e64 v11, null, s9, v5, s0
	v_lshlrev_b64 v[4:5], 3, v[15:16]
	v_add_co_u32 v14, s0, s8, v4
	v_add_co_ci_u32_e64 v15, null, s9, v5, s0
	ds_read2_b64 v[4:7], v43 offset0:14 offset1:15
	s_waitcnt lgkmcnt(0)
	global_store_dwordx2 v[10:11], v[4:5], off
	global_store_dwordx2 v[14:15], v[6:7], off
	v_lshlrev_b64 v[4:5], 3, v[65:66]
	v_lshlrev_b64 v[6:7], 3, v[85:86]
	v_add_co_u32 v10, s0, s8, v4
	v_add_co_ci_u32_e64 v11, null, s9, v5, s0
	v_add_co_u32 v14, s0, s8, v6
	v_add_co_ci_u32_e64 v15, null, s9, v7, s0
	ds_read2_b64 v[4:7], v43 offset0:16 offset1:17
	s_waitcnt lgkmcnt(0)
	global_store_dwordx2 v[10:11], v[4:5], off
	global_store_dwordx2 v[14:15], v[6:7], off
	ds_read2_b64 v[5:8], v43 offset0:18 offset1:19
	v_mov_b32_e32 v4, v2
	v_mov_b32_e32 v10, v2
	;; [unrolled: 1-line block ×3, first 2 shown]
	v_lshlrev_b64 v[11:12], 3, v[81:82]
	v_lshlrev_b64 v[15:16], 3, v[93:94]
	;; [unrolled: 1-line block ×5, first 2 shown]
	v_add_co_u32 v3, s0, s8, v3
	v_add_co_ci_u32_e64 v4, null, s9, v4, s0
	v_add_co_u32 v9, s0, s8, v9
	v_add_co_ci_u32_e64 v10, null, s9, v10, s0
	s_waitcnt lgkmcnt(0)
	global_store_dwordx2 v[3:4], v[5:6], off
	global_store_dwordx2 v[9:10], v[7:8], off
	ds_read2_b64 v[3:6], v43 offset0:20 offset1:21
	ds_read2_b64 v[7:10], v43 offset0:22 offset1:23
	v_add_co_u32 v11, s0, s8, v11
	v_add_co_ci_u32_e64 v12, null, s9, v12, s0
	v_add_co_u32 v13, s0, s8, v13
	v_add_co_ci_u32_e64 v14, null, s9, v14, s0
	;; [unrolled: 2-line block ×3, first 2 shown]
	s_waitcnt lgkmcnt(1)
	global_store_dwordx2 v[11:12], v[3:4], off
	global_store_dwordx2 v[13:14], v[5:6], off
	s_waitcnt lgkmcnt(0)
	global_store_dwordx2 v[15:16], v[7:8], off
	ds_read2_b64 v[3:6], v43 offset0:24 offset1:25
	ds_read2_b64 v[11:14], v43 offset0:26 offset1:27
	v_lshlrev_b64 v[15:16], 3, v[19:20]
	v_add_co_u32 v7, s0, s8, v23
	v_lshlrev_b64 v[19:20], 3, v[99:100]
	v_add_co_ci_u32_e64 v8, null, s9, v24, s0
	v_lshlrev_b64 v[23:24], 3, v[31:32]
	v_add_co_u32 v15, s0, s8, v15
	v_add_co_ci_u32_e64 v16, null, s9, v16, s0
	v_add_co_u32 v19, s0, s8, v19
	v_add_co_ci_u32_e64 v20, null, s9, v20, s0
	v_add_co_u32 v23, s0, s8, v23
	global_store_dwordx2 v[7:8], v[9:10], off
	v_lshlrev_b64 v[7:8], 3, v[103:104]
	v_add_co_ci_u32_e64 v24, null, s9, v24, s0
	s_waitcnt lgkmcnt(1)
	global_store_dwordx2 v[15:16], v[3:4], off
	global_store_dwordx2 v[19:20], v[5:6], off
	s_waitcnt lgkmcnt(0)
	global_store_dwordx2 v[23:24], v[11:12], off
	ds_read2_b64 v[3:6], v43 offset0:28 offset1:29
	v_add_co_u32 v11, s0, s8, v7
	v_add_co_ci_u32_e64 v12, null, s9, v8, s0
	ds_read2_b64 v[7:10], v43 offset0:30 offset1:31
	v_lshlrev_b64 v[15:16], 3, v[33:34]
	v_lshlrev_b64 v[19:20], 3, v[37:38]
	v_lshlrev_b64 v[23:24], 3, v[41:42]
	v_add_co_u32 v15, s0, s8, v15
	v_add_co_ci_u32_e64 v16, null, s9, v16, s0
	v_add_co_u32 v19, s0, s8, v19
	v_add_co_ci_u32_e64 v20, null, s9, v20, s0
	;; [unrolled: 2-line block ×4, first 2 shown]
	global_store_dwordx2 v[11:12], v[13:14], off
	s_waitcnt lgkmcnt(1)
	global_store_dwordx2 v[15:16], v[3:4], off
	global_store_dwordx2 v[19:20], v[5:6], off
	s_waitcnt lgkmcnt(0)
	global_store_dwordx2 v[23:24], v[7:8], off
	global_store_dwordx2 v[25:26], v[9:10], off
	s_and_b32 exec_lo, exec_lo, vcc_lo
	s_cbranch_execz .LBB1_1
; %bb.68:                               ;   in Loop: Header=BB1_2 Depth=1
	s_clause 0x3
	buffer_load_dword v3, off, s[48:51], 0
	buffer_load_dword v4, off, s[48:51], 0 offset:4
	buffer_load_dword v5, off, s[48:51], 0 offset:8
	;; [unrolled: 1-line block ×3, first 2 shown]
	v_add_nc_u32_e32 v1, 0x800, v127
	s_waitcnt vmcnt(0)
	ds_write2_b64 v127, v[3:4], v[5:6] offset1:32
	s_clause 0x3
	buffer_load_dword v3, off, s[48:51], 0 offset:16
	buffer_load_dword v4, off, s[48:51], 0 offset:20
	buffer_load_dword v5, off, s[48:51], 0 offset:24
	buffer_load_dword v6, off, s[48:51], 0 offset:28
	s_waitcnt vmcnt(0)
	ds_write2_b64 v127, v[3:4], v[5:6] offset0:64 offset1:96
	s_clause 0x3
	buffer_load_dword v3, off, s[48:51], 0 offset:32
	buffer_load_dword v4, off, s[48:51], 0 offset:36
	buffer_load_dword v5, off, s[48:51], 0 offset:40
	buffer_load_dword v6, off, s[48:51], 0 offset:44
	s_waitcnt vmcnt(0)
	ds_write2_b64 v127, v[3:4], v[5:6] offset0:128 offset1:160
	;; [unrolled: 7-line block ×3, first 2 shown]
	s_clause 0x3
	buffer_load_dword v3, off, s[48:51], 0 offset:64
	buffer_load_dword v4, off, s[48:51], 0 offset:68
	;; [unrolled: 1-line block ×4, first 2 shown]
	s_waitcnt vmcnt(0)
	ds_write2_b64 v1, v[3:4], v[5:6] offset1:32
	s_clause 0x3
	buffer_load_dword v4, off, s[48:51], 0 offset:80
	buffer_load_dword v5, off, s[48:51], 0 offset:84
	;; [unrolled: 1-line block ×4, first 2 shown]
	v_add_nc_u32_e32 v3, 0x1000, v127
	s_waitcnt vmcnt(0)
	ds_write2_b64 v1, v[4:5], v[6:7] offset0:64 offset1:96
	s_clause 0x3
	buffer_load_dword v4, off, s[48:51], 0 offset:96
	buffer_load_dword v5, off, s[48:51], 0 offset:100
	buffer_load_dword v6, off, s[48:51], 0 offset:104
	buffer_load_dword v7, off, s[48:51], 0 offset:108
	s_waitcnt vmcnt(0)
	ds_write2_b64 v1, v[4:5], v[6:7] offset0:128 offset1:160
	s_clause 0x3
	buffer_load_dword v4, off, s[48:51], 0 offset:112
	buffer_load_dword v5, off, s[48:51], 0 offset:116
	buffer_load_dword v6, off, s[48:51], 0 offset:120
	buffer_load_dword v7, off, s[48:51], 0 offset:124
	;; [unrolled: 7-line block ×3, first 2 shown]
	v_add_nc_u32_e32 v1, 0x1800, v127
	s_waitcnt vmcnt(0)
	ds_write2_b64 v3, v[4:5], v[6:7] offset1:32
	s_clause 0x3
	buffer_load_dword v4, off, s[48:51], 0 offset:144
	buffer_load_dword v5, off, s[48:51], 0 offset:148
	;; [unrolled: 1-line block ×4, first 2 shown]
	s_waitcnt vmcnt(0)
	ds_write2_b64 v3, v[4:5], v[6:7] offset0:64 offset1:96
	s_clause 0x1
	buffer_load_dword v4, off, s[48:51], 0 offset:160
	buffer_load_dword v5, off, s[48:51], 0 offset:164
	s_waitcnt vmcnt(0)
	ds_write2_b64 v3, v[4:5], v[109:110] offset0:128 offset1:160
	ds_write2_b64 v3, v[111:112], v[113:114] offset0:192 offset1:224
	ds_write2_b64 v1, v[115:116], v[119:120] offset1:32
	ds_write2_b64 v1, v[17:18], v[45:46] offset0:64 offset1:96
	ds_write2_b64 v1, v[75:76], v[91:92] offset0:128 offset1:160
	;; [unrolled: 1-line block ×3, first 2 shown]
	ds_read2_b64 v[3:6], v43 offset1:1
	s_clause 0x1
	buffer_load_dword v7, off, s[48:51], 0 offset:168
	buffer_load_dword v8, off, s[48:51], 0 offset:172
	s_waitcnt vmcnt(1)
	v_add_co_u32 v11, vcc_lo, s8, v7
	s_waitcnt vmcnt(0)
	v_add_co_ci_u32_e64 v12, null, s9, v8, vcc_lo
	s_clause 0x1
	buffer_load_dword v7, off, s[48:51], 0 offset:176
	buffer_load_dword v8, off, s[48:51], 0 offset:180
	s_waitcnt vmcnt(1)
	v_add_co_u32 v13, vcc_lo, s8, v7
	s_waitcnt vmcnt(0)
	v_add_co_ci_u32_e64 v14, null, s9, v8, vcc_lo
	ds_read2_b64 v[7:10], v43 offset0:2 offset1:3
	s_waitcnt lgkmcnt(1)
	global_store_dwordx2 v[11:12], v[3:4], off
	global_store_dwordx2 v[13:14], v[5:6], off
	ds_read2_b64 v[3:6], v43 offset0:4 offset1:5
	s_clause 0x7
	buffer_load_dword v11, off, s[48:51], 0 offset:184
	buffer_load_dword v12, off, s[48:51], 0 offset:188
	buffer_load_dword v13, off, s[48:51], 0 offset:192
	buffer_load_dword v14, off, s[48:51], 0 offset:196
	buffer_load_dword v15, off, s[48:51], 0 offset:200
	buffer_load_dword v16, off, s[48:51], 0 offset:204
	buffer_load_dword v17, off, s[48:51], 0 offset:216
	buffer_load_dword v18, off, s[48:51], 0 offset:220
	s_waitcnt vmcnt(7)
	v_add_co_u32 v11, vcc_lo, s8, v11
	s_waitcnt vmcnt(6)
	v_add_co_ci_u32_e64 v12, null, s9, v12, vcc_lo
	s_waitcnt vmcnt(5)
	v_add_co_u32 v13, vcc_lo, s8, v13
	s_waitcnt vmcnt(4)
	v_add_co_ci_u32_e64 v14, null, s9, v14, vcc_lo
	s_waitcnt vmcnt(3)
	v_add_co_u32 v15, vcc_lo, s8, v15
	s_waitcnt vmcnt(2)
	v_add_co_ci_u32_e64 v16, null, s9, v16, vcc_lo
	s_waitcnt vmcnt(1)
	v_add_co_u32 v17, vcc_lo, s8, v17
	s_waitcnt vmcnt(0)
	v_add_co_ci_u32_e64 v18, null, s9, v18, vcc_lo
	s_waitcnt lgkmcnt(1)
	global_store_dwordx2 v[11:12], v[7:8], off
	global_store_dwordx2 v[13:14], v[9:10], off
	ds_read2_b64 v[7:10], v43 offset0:6 offset1:7
	s_waitcnt lgkmcnt(1)
	global_store_dwordx2 v[15:16], v[3:4], off
	global_store_dwordx2 v[17:18], v[5:6], off
	ds_read2_b64 v[3:6], v43 offset0:8 offset1:9
	s_clause 0x7
	buffer_load_dword v11, off, s[48:51], 0 offset:208
	buffer_load_dword v12, off, s[48:51], 0 offset:212
	buffer_load_dword v13, off, s[48:51], 0 offset:224
	buffer_load_dword v14, off, s[48:51], 0 offset:228
	buffer_load_dword v15, off, s[48:51], 0 offset:232
	buffer_load_dword v16, off, s[48:51], 0 offset:236
	buffer_load_dword v17, off, s[48:51], 0 offset:248
	buffer_load_dword v18, off, s[48:51], 0 offset:252
	s_waitcnt vmcnt(7)
	v_add_co_u32 v11, vcc_lo, s8, v11
	s_waitcnt vmcnt(6)
	v_add_co_ci_u32_e64 v12, null, s9, v12, vcc_lo
	s_waitcnt vmcnt(5)
	v_add_co_u32 v13, vcc_lo, s8, v13
	s_waitcnt vmcnt(4)
	v_add_co_ci_u32_e64 v14, null, s9, v14, vcc_lo
	s_waitcnt vmcnt(3)
	v_add_co_u32 v15, vcc_lo, s8, v15
	s_waitcnt vmcnt(2)
	v_add_co_ci_u32_e64 v16, null, s9, v16, vcc_lo
	s_waitcnt vmcnt(1)
	v_add_co_u32 v17, vcc_lo, s8, v17
	s_waitcnt vmcnt(0)
	v_add_co_ci_u32_e64 v18, null, s9, v18, vcc_lo
	s_waitcnt lgkmcnt(1)
	global_store_dwordx2 v[11:12], v[7:8], off
	global_store_dwordx2 v[13:14], v[9:10], off
	;; [unrolled: 33-line block ×3, first 2 shown]
	ds_read2_b64 v[7:10], v43 offset0:14 offset1:15
	s_waitcnt lgkmcnt(1)
	global_store_dwordx2 v[15:16], v[3:4], off
	global_store_dwordx2 v[17:18], v[5:6], off
	ds_read2_b64 v[3:6], v43 offset0:16 offset1:17
	s_clause 0x3
	buffer_load_dword v11, off, s[48:51], 0 offset:272
	buffer_load_dword v12, off, s[48:51], 0 offset:276
	;; [unrolled: 1-line block ×4, first 2 shown]
	s_waitcnt vmcnt(3)
	v_add_co_u32 v11, vcc_lo, s8, v11
	s_waitcnt vmcnt(2)
	v_add_co_ci_u32_e64 v12, null, s9, v12, vcc_lo
	s_waitcnt vmcnt(1)
	v_add_co_u32 v13, vcc_lo, s8, v13
	s_waitcnt vmcnt(0)
	v_add_co_ci_u32_e64 v14, null, s9, v14, vcc_lo
	v_add_co_u32 v15, vcc_lo, s8, v107
	v_add_co_ci_u32_e64 v16, null, s9, v108, vcc_lo
	v_add_co_u32 v17, vcc_lo, s8, v57
	v_add_co_ci_u32_e64 v18, null, s9, v58, vcc_lo
	s_waitcnt lgkmcnt(1)
	global_store_dwordx2 v[11:12], v[7:8], off
	global_store_dwordx2 v[13:14], v[9:10], off
	ds_read2_b64 v[7:10], v43 offset0:18 offset1:19
	s_waitcnt lgkmcnt(1)
	global_store_dwordx2 v[15:16], v[3:4], off
	global_store_dwordx2 v[17:18], v[5:6], off
	ds_read2_b64 v[3:6], v43 offset0:20 offset1:21
	v_add_co_u32 v11, vcc_lo, s8, v53
	v_add_co_ci_u32_e64 v12, null, s9, v54, vcc_lo
	v_add_co_u32 v13, vcc_lo, s8, v59
	v_add_co_ci_u32_e64 v14, null, s9, v60, vcc_lo
	;; [unrolled: 2-line block ×4, first 2 shown]
	s_waitcnt lgkmcnt(1)
	global_store_dwordx2 v[11:12], v[7:8], off
	global_store_dwordx2 v[13:14], v[9:10], off
	ds_read2_b64 v[7:10], v43 offset0:22 offset1:23
	s_waitcnt lgkmcnt(1)
	global_store_dwordx2 v[15:16], v[3:4], off
	global_store_dwordx2 v[17:18], v[5:6], off
	ds_read2_b64 v[3:6], v43 offset0:24 offset1:25
	ds_read2_b64 v[11:14], v43 offset0:26 offset1:27
	v_add_co_u32 v15, vcc_lo, s8, v69
	v_add_co_ci_u32_e64 v16, null, s9, v70, vcc_lo
	v_add_co_u32 v17, vcc_lo, s8, v73
	v_add_co_ci_u32_e64 v18, null, s9, v74, vcc_lo
	;; [unrolled: 2-line block ×5, first 2 shown]
	s_waitcnt lgkmcnt(2)
	global_store_dwordx2 v[15:16], v[7:8], off
	global_store_dwordx2 v[17:18], v[9:10], off
	s_waitcnt lgkmcnt(1)
	global_store_dwordx2 v[19:20], v[3:4], off
	global_store_dwordx2 v[21:22], v[5:6], off
	s_waitcnt lgkmcnt(0)
	global_store_dwordx2 v[23:24], v[11:12], off
	ds_read2_b64 v[3:6], v43 offset0:28 offset1:29
	ds_read2_b64 v[7:10], v43 offset0:30 offset1:31
	v_add_co_u32 v11, vcc_lo, s8, v87
	v_add_co_ci_u32_e64 v12, null, s9, v88, vcc_lo
	v_add_co_u32 v15, vcc_lo, s8, v89
	v_add_co_ci_u32_e64 v16, null, s9, v90, vcc_lo
	;; [unrolled: 2-line block ×5, first 2 shown]
	global_store_dwordx2 v[11:12], v[13:14], off
	s_waitcnt lgkmcnt(1)
	global_store_dwordx2 v[15:16], v[3:4], off
	global_store_dwordx2 v[17:18], v[5:6], off
	s_waitcnt lgkmcnt(0)
	global_store_dwordx2 v[19:20], v[7:8], off
	global_store_dwordx2 v[21:22], v[9:10], off
	s_branch .LBB1_1
.LBB1_69:
	s_endpgm
	.section	.rodata,"a",@progbits
	.p2align	6, 0x0
	.amdhsa_kernel _Z21bit_rev_permutation_zPlPKlj
		.amdhsa_group_segment_fixed_size 0
		.amdhsa_private_segment_fixed_size 300
		.amdhsa_kernarg_size 280
		.amdhsa_user_sgpr_count 6
		.amdhsa_user_sgpr_private_segment_buffer 1
		.amdhsa_user_sgpr_dispatch_ptr 0
		.amdhsa_user_sgpr_queue_ptr 0
		.amdhsa_user_sgpr_kernarg_segment_ptr 1
		.amdhsa_user_sgpr_dispatch_id 0
		.amdhsa_user_sgpr_flat_scratch_init 0
		.amdhsa_user_sgpr_private_segment_size 0
		.amdhsa_wavefront_size32 1
		.amdhsa_uses_dynamic_stack 0
		.amdhsa_system_sgpr_private_segment_wavefront_offset 1
		.amdhsa_system_sgpr_workgroup_id_x 1
		.amdhsa_system_sgpr_workgroup_id_y 0
		.amdhsa_system_sgpr_workgroup_id_z 0
		.amdhsa_system_sgpr_workgroup_info 0
		.amdhsa_system_vgpr_workitem_id 0
		.amdhsa_next_free_vgpr 128
		.amdhsa_next_free_sgpr 52
		.amdhsa_reserve_vcc 1
		.amdhsa_reserve_flat_scratch 0
		.amdhsa_float_round_mode_32 0
		.amdhsa_float_round_mode_16_64 0
		.amdhsa_float_denorm_mode_32 3
		.amdhsa_float_denorm_mode_16_64 3
		.amdhsa_dx10_clamp 1
		.amdhsa_ieee_mode 1
		.amdhsa_fp16_overflow 0
		.amdhsa_workgroup_processor_mode 1
		.amdhsa_memory_ordered 1
		.amdhsa_forward_progress 1
		.amdhsa_shared_vgpr_count 0
		.amdhsa_exception_fp_ieee_invalid_op 0
		.amdhsa_exception_fp_denorm_src 0
		.amdhsa_exception_fp_ieee_div_zero 0
		.amdhsa_exception_fp_ieee_overflow 0
		.amdhsa_exception_fp_ieee_underflow 0
		.amdhsa_exception_fp_ieee_inexact 0
		.amdhsa_exception_int_div_zero 0
	.end_amdhsa_kernel
	.text
.Lfunc_end1:
	.size	_Z21bit_rev_permutation_zPlPKlj, .Lfunc_end1-_Z21bit_rev_permutation_zPlPKlj
                                        ; -- End function
	.set _Z21bit_rev_permutation_zPlPKlj.num_vgpr, 128
	.set _Z21bit_rev_permutation_zPlPKlj.num_agpr, 0
	.set _Z21bit_rev_permutation_zPlPKlj.numbered_sgpr, 52
	.set _Z21bit_rev_permutation_zPlPKlj.num_named_barrier, 0
	.set _Z21bit_rev_permutation_zPlPKlj.private_seg_size, 300
	.set _Z21bit_rev_permutation_zPlPKlj.uses_vcc, 1
	.set _Z21bit_rev_permutation_zPlPKlj.uses_flat_scratch, 0
	.set _Z21bit_rev_permutation_zPlPKlj.has_dyn_sized_stack, 0
	.set _Z21bit_rev_permutation_zPlPKlj.has_recursion, 0
	.set _Z21bit_rev_permutation_zPlPKlj.has_indirect_call, 0
	.section	.AMDGPU.csdata,"",@progbits
; Kernel info:
; codeLenInByte = 7976
; TotalNumSgprs: 54
; NumVgprs: 128
; ScratchSize: 300
; MemoryBound: 0
; FloatMode: 240
; IeeeMode: 1
; LDSByteSize: 0 bytes/workgroup (compile time only)
; SGPRBlocks: 0
; VGPRBlocks: 15
; NumSGPRsForWavesPerEU: 54
; NumVGPRsForWavesPerEU: 128
; Occupancy: 8
; WaveLimiterHint : 0
; COMPUTE_PGM_RSRC2:SCRATCH_EN: 1
; COMPUTE_PGM_RSRC2:USER_SGPR: 6
; COMPUTE_PGM_RSRC2:TRAP_HANDLER: 0
; COMPUTE_PGM_RSRC2:TGID_X_EN: 1
; COMPUTE_PGM_RSRC2:TGID_Y_EN: 0
; COMPUTE_PGM_RSRC2:TGID_Z_EN: 0
; COMPUTE_PGM_RSRC2:TIDIG_COMP_CNT: 0
	.text
	.p2alignl 6, 3214868480
	.fill 48, 4, 3214868480
	.section	.AMDGPU.gpr_maximums,"",@progbits
	.set amdgpu.max_num_vgpr, 0
	.set amdgpu.max_num_agpr, 0
	.set amdgpu.max_num_sgpr, 0
	.text
	.type	__hip_cuid_2a893d679219dfd6,@object ; @__hip_cuid_2a893d679219dfd6
	.section	.bss,"aw",@nobits
	.globl	__hip_cuid_2a893d679219dfd6
__hip_cuid_2a893d679219dfd6:
	.byte	0                               ; 0x0
	.size	__hip_cuid_2a893d679219dfd6, 1

	.ident	"AMD clang version 22.0.0git (https://github.com/RadeonOpenCompute/llvm-project roc-7.2.4 26084 f58b06dce1f9c15707c5f808fd002e18c2accf7e)"
	.section	".note.GNU-stack","",@progbits
	.addrsig
	.addrsig_sym __hip_cuid_2a893d679219dfd6
	.amdgpu_metadata
---
amdhsa.kernels:
  - .args:
      - .address_space:  global
        .offset:         0
        .size:           8
        .value_kind:     global_buffer
      - .address_space:  global
        .offset:         8
        .size:           8
        .value_kind:     global_buffer
      - .offset:         16
        .size:           4
        .value_kind:     by_value
      - .offset:         24
        .size:           4
        .value_kind:     hidden_block_count_x
      - .offset:         28
        .size:           4
        .value_kind:     hidden_block_count_y
      - .offset:         32
        .size:           4
        .value_kind:     hidden_block_count_z
      - .offset:         36
        .size:           2
        .value_kind:     hidden_group_size_x
      - .offset:         38
        .size:           2
        .value_kind:     hidden_group_size_y
      - .offset:         40
        .size:           2
        .value_kind:     hidden_group_size_z
      - .offset:         42
        .size:           2
        .value_kind:     hidden_remainder_x
      - .offset:         44
        .size:           2
        .value_kind:     hidden_remainder_y
      - .offset:         46
        .size:           2
        .value_kind:     hidden_remainder_z
      - .offset:         64
        .size:           8
        .value_kind:     hidden_global_offset_x
      - .offset:         72
        .size:           8
        .value_kind:     hidden_global_offset_y
      - .offset:         80
        .size:           8
        .value_kind:     hidden_global_offset_z
      - .offset:         88
        .size:           2
        .value_kind:     hidden_grid_dims
    .group_segment_fixed_size: 0
    .kernarg_segment_align: 8
    .kernarg_segment_size: 280
    .language:       OpenCL C
    .language_version:
      - 2
      - 0
    .max_flat_workgroup_size: 1024
    .name:           _Z19bit_rev_permutationPlPKlj
    .private_segment_fixed_size: 0
    .sgpr_count:     14
    .sgpr_spill_count: 0
    .symbol:         _Z19bit_rev_permutationPlPKlj.kd
    .uniform_work_group_size: 1
    .uses_dynamic_stack: false
    .vgpr_count:     11
    .vgpr_spill_count: 0
    .wavefront_size: 32
    .workgroup_processor_mode: 1
  - .args:
      - .address_space:  global
        .offset:         0
        .size:           8
        .value_kind:     global_buffer
      - .address_space:  global
        .offset:         8
        .size:           8
        .value_kind:     global_buffer
      - .offset:         16
        .size:           4
        .value_kind:     by_value
      - .offset:         24
        .size:           4
        .value_kind:     hidden_block_count_x
      - .offset:         28
        .size:           4
        .value_kind:     hidden_block_count_y
      - .offset:         32
        .size:           4
        .value_kind:     hidden_block_count_z
      - .offset:         36
        .size:           2
        .value_kind:     hidden_group_size_x
      - .offset:         38
        .size:           2
        .value_kind:     hidden_group_size_y
      - .offset:         40
        .size:           2
        .value_kind:     hidden_group_size_z
      - .offset:         42
        .size:           2
        .value_kind:     hidden_remainder_x
      - .offset:         44
        .size:           2
        .value_kind:     hidden_remainder_y
      - .offset:         46
        .size:           2
        .value_kind:     hidden_remainder_z
      - .offset:         64
        .size:           8
        .value_kind:     hidden_global_offset_x
      - .offset:         72
        .size:           8
        .value_kind:     hidden_global_offset_y
      - .offset:         80
        .size:           8
        .value_kind:     hidden_global_offset_z
      - .offset:         88
        .size:           2
        .value_kind:     hidden_grid_dims
      - .offset:         144
        .size:           4
        .value_kind:     hidden_dynamic_lds_size
    .group_segment_fixed_size: 0
    .kernarg_segment_align: 8
    .kernarg_segment_size: 280
    .language:       OpenCL C
    .language_version:
      - 2
      - 0
    .max_flat_workgroup_size: 1024
    .name:           _Z21bit_rev_permutation_zPlPKlj
    .private_segment_fixed_size: 300
    .sgpr_count:     54
    .sgpr_spill_count: 0
    .symbol:         _Z21bit_rev_permutation_zPlPKlj.kd
    .uniform_work_group_size: 1
    .uses_dynamic_stack: false
    .vgpr_count:     128
    .vgpr_spill_count: 116
    .wavefront_size: 32
    .workgroup_processor_mode: 1
amdhsa.target:   amdgcn-amd-amdhsa--gfx1030
amdhsa.version:
  - 1
  - 2
...

	.end_amdgpu_metadata
